;; amdgpu-corpus repo=ROCm/rocFFT kind=compiled arch=gfx1030 opt=O3
	.text
	.amdgcn_target "amdgcn-amd-amdhsa--gfx1030"
	.amdhsa_code_object_version 6
	.protected	fft_rtc_back_len168_factors_7_6_4_wgs_252_tpt_42_halfLds_half_op_CI_CI_sbcc_twdbase8_2step ; -- Begin function fft_rtc_back_len168_factors_7_6_4_wgs_252_tpt_42_halfLds_half_op_CI_CI_sbcc_twdbase8_2step
	.globl	fft_rtc_back_len168_factors_7_6_4_wgs_252_tpt_42_halfLds_half_op_CI_CI_sbcc_twdbase8_2step
	.p2align	8
	.type	fft_rtc_back_len168_factors_7_6_4_wgs_252_tpt_42_halfLds_half_op_CI_CI_sbcc_twdbase8_2step,@function
fft_rtc_back_len168_factors_7_6_4_wgs_252_tpt_42_halfLds_half_op_CI_CI_sbcc_twdbase8_2step: ; @fft_rtc_back_len168_factors_7_6_4_wgs_252_tpt_42_halfLds_half_op_CI_CI_sbcc_twdbase8_2step
; %bb.0:
	s_clause 0x1
	s_load_dwordx4 s[16:19], s[4:5], 0x18
	s_load_dwordx2 s[30:31], s[4:5], 0x28
	s_mov_b64 s[24:25], 0
	s_waitcnt lgkmcnt(0)
	s_load_dwordx2 s[28:29], s[16:17], 0x8
	s_waitcnt lgkmcnt(0)
	s_add_u32 s0, s28, -1
	s_addc_u32 s1, s29, -1
	s_add_u32 s2, 0, 0xaaa80000
	s_addc_u32 s3, 0, 0xaa
	s_mul_hi_u32 s8, s2, -6
	s_add_i32 s3, s3, 0x2aaaaa00
	s_sub_i32 s8, s8, s2
	s_mul_i32 s10, s3, -6
	s_mul_i32 s7, s2, -6
	s_add_i32 s8, s8, s10
	s_mul_hi_u32 s9, s2, s7
	s_mul_i32 s12, s2, s8
	s_mul_hi_u32 s10, s2, s8
	s_mul_hi_u32 s11, s3, s7
	s_mul_i32 s7, s3, s7
	s_add_u32 s9, s9, s12
	s_addc_u32 s10, 0, s10
	s_mul_hi_u32 s13, s3, s8
	s_add_u32 s7, s9, s7
	s_mul_i32 s8, s3, s8
	s_addc_u32 s7, s10, s11
	s_addc_u32 s9, s13, 0
	s_add_u32 s7, s7, s8
	v_add_co_u32 v1, s2, s2, s7
	s_addc_u32 s7, 0, s9
	s_cmp_lg_u32 s2, 0
	s_addc_u32 s2, s3, s7
	v_readfirstlane_b32 s3, v1
	s_mul_i32 s8, s0, s2
	s_mul_hi_u32 s7, s0, s2
	s_mul_hi_u32 s9, s1, s2
	s_mul_i32 s2, s1, s2
	s_mul_hi_u32 s10, s0, s3
	s_mul_hi_u32 s11, s1, s3
	s_mul_i32 s3, s1, s3
	s_add_u32 s8, s10, s8
	s_addc_u32 s7, 0, s7
	s_add_u32 s3, s8, s3
	s_addc_u32 s3, s7, s11
	s_addc_u32 s7, s9, 0
	s_add_u32 s2, s3, s2
	s_addc_u32 s3, 0, s7
	s_mul_i32 s8, s2, 6
	s_add_u32 s7, s2, 1
	v_sub_co_u32 v1, s0, s0, s8
	s_mul_hi_u32 s8, s2, 6
	s_addc_u32 s9, s3, 0
	s_mul_i32 s10, s3, 6
	v_sub_co_u32 v2, s11, v1, 6
	s_add_u32 s12, s2, 2
	s_addc_u32 s13, s3, 0
	s_add_i32 s8, s8, s10
	s_cmp_lg_u32 s0, 0
	v_readfirstlane_b32 s0, v2
	s_subb_u32 s1, s1, s8
	s_cmp_lg_u32 s11, 0
	s_subb_u32 s8, s1, 0
	s_cmp_gt_u32 s0, 5
	s_cselect_b32 s0, -1, 0
	s_cmp_eq_u32 s8, 0
	v_readfirstlane_b32 s8, v1
	s_cselect_b32 s0, s0, -1
	s_cmp_lg_u32 s0, 0
	s_cselect_b32 s0, s12, s7
	s_cselect_b32 s9, s13, s9
	s_cmp_gt_u32 s8, 5
	s_cselect_b32 s7, -1, 0
	s_cmp_eq_u32 s1, 0
	s_cselect_b32 s1, s7, -1
	s_mov_b32 s7, 0
	s_cmp_lg_u32 s1, 0
	s_cselect_b32 s0, s0, s2
	s_cselect_b32 s1, s9, s3
	s_add_u32 s36, s0, 1
	s_addc_u32 s37, s1, 0
	v_cmp_lt_u64_e64 s0, s[6:7], s[36:37]
	s_and_b32 vcc_lo, exec_lo, s0
	s_cbranch_vccnz .LBB0_2
; %bb.1:
	v_cvt_f32_u32_e32 v1, s36
	s_sub_i32 s1, 0, s36
	s_mov_b32 s25, s7
	v_rcp_iflag_f32_e32 v1, v1
	v_mul_f32_e32 v1, 0x4f7ffffe, v1
	v_cvt_u32_f32_e32 v1, v1
	v_readfirstlane_b32 s0, v1
	s_mul_i32 s1, s1, s0
	s_mul_hi_u32 s1, s0, s1
	s_add_i32 s0, s0, s1
	s_mul_hi_u32 s0, s6, s0
	s_mul_i32 s1, s0, s36
	s_add_i32 s2, s0, 1
	s_sub_i32 s1, s6, s1
	s_sub_i32 s3, s1, s36
	s_cmp_ge_u32 s1, s36
	s_cselect_b32 s0, s2, s0
	s_cselect_b32 s1, s3, s1
	s_add_i32 s2, s0, 1
	s_cmp_ge_u32 s1, s36
	s_cselect_b32 s24, s2, s0
.LBB0_2:
	s_load_dwordx4 s[20:23], s[18:19], 0x0
	s_load_dwordx4 s[8:11], s[30:31], 0x0
	s_clause 0x1
	s_load_dwordx4 s[12:15], s[4:5], 0x8
	s_load_dwordx2 s[26:27], s[4:5], 0x0
	s_mul_i32 s0, s24, s37
	s_mul_hi_u32 s1, s24, s36
	s_mul_i32 s2, s24, s36
	s_add_i32 s1, s1, s0
	s_sub_u32 s50, s6, s2
	s_subb_u32 s0, 0, s1
	s_mul_hi_u32 s33, s50, 6
	s_mul_i32 s34, s0, 6
	s_load_dwordx4 s[0:3], s[4:5], 0x60
	s_add_i32 s33, s33, s34
	s_mul_i32 s50, s50, 6
	s_waitcnt lgkmcnt(0)
	s_mul_i32 s4, s22, s33
	s_mul_hi_u32 s5, s22, s50
	v_cmp_lt_u64_e64 s40, s[14:15], 3
	s_mul_i32 s35, s10, s33
	s_mul_hi_u32 s38, s10, s50
	s_mul_i32 s34, s23, s50
	s_mul_i32 s39, s11, s50
	s_add_i32 s4, s5, s4
	s_add_i32 s5, s38, s35
	;; [unrolled: 1-line block ×3, first 2 shown]
	s_mul_i32 s34, s22, s50
	s_add_i32 s5, s5, s39
	s_and_b32 vcc_lo, exec_lo, s40
	s_mul_i32 s4, s10, s50
	s_cbranch_vccnz .LBB0_12
; %bb.3:
	s_add_u32 s38, s30, 16
	s_addc_u32 s39, s31, 0
	s_add_u32 s40, s18, 16
	s_addc_u32 s41, s19, 0
	;; [unrolled: 2-line block ×3, first 2 shown]
	s_mov_b64 s[42:43], 2
	s_mov_b32 s44, 0
.LBB0_4:                                ; =>This Inner Loop Header: Depth=1
	s_load_dwordx2 s[46:47], s[16:17], 0x0
	s_waitcnt lgkmcnt(0)
	s_or_b64 s[48:49], s[24:25], s[46:47]
	s_mov_b32 s45, s49
                                        ; implicit-def: $sgpr48_sgpr49
	s_cmp_lg_u64 s[44:45], 0
	s_mov_b32 s45, -1
	s_cbranch_scc0 .LBB0_6
; %bb.5:                                ;   in Loop: Header=BB0_4 Depth=1
	v_cvt_f32_u32_e32 v1, s46
	v_cvt_f32_u32_e32 v2, s47
	s_sub_u32 s49, 0, s46
	s_subb_u32 s51, 0, s47
	v_fmac_f32_e32 v1, 0x4f800000, v2
	v_rcp_f32_e32 v1, v1
	v_mul_f32_e32 v1, 0x5f7ffffc, v1
	v_mul_f32_e32 v2, 0x2f800000, v1
	v_trunc_f32_e32 v2, v2
	v_fmac_f32_e32 v1, 0xcf800000, v2
	v_cvt_u32_f32_e32 v2, v2
	v_cvt_u32_f32_e32 v1, v1
	v_readfirstlane_b32 s45, v2
	v_readfirstlane_b32 s48, v1
	s_mul_i32 s52, s49, s45
	s_mul_hi_u32 s54, s49, s48
	s_mul_i32 s53, s51, s48
	s_add_i32 s52, s54, s52
	s_mul_i32 s55, s49, s48
	s_add_i32 s52, s52, s53
	s_mul_hi_u32 s54, s48, s55
	s_mul_hi_u32 s56, s45, s55
	s_mul_i32 s53, s45, s55
	s_mul_hi_u32 s55, s48, s52
	s_mul_i32 s48, s48, s52
	s_mul_hi_u32 s57, s45, s52
	s_add_u32 s48, s54, s48
	s_addc_u32 s54, 0, s55
	s_add_u32 s48, s48, s53
	s_mul_i32 s52, s45, s52
	s_addc_u32 s48, s54, s56
	s_addc_u32 s53, s57, 0
	s_add_u32 s48, s48, s52
	s_addc_u32 s52, 0, s53
	v_add_co_u32 v1, s48, v1, s48
	s_cmp_lg_u32 s48, 0
	s_addc_u32 s45, s45, s52
	v_readfirstlane_b32 s48, v1
	s_mul_i32 s52, s49, s45
	s_mul_hi_u32 s53, s49, s48
	s_mul_i32 s51, s51, s48
	s_add_i32 s52, s53, s52
	s_mul_i32 s49, s49, s48
	s_add_i32 s52, s52, s51
	s_mul_hi_u32 s53, s45, s49
	s_mul_i32 s54, s45, s49
	s_mul_hi_u32 s49, s48, s49
	s_mul_hi_u32 s55, s48, s52
	s_mul_i32 s48, s48, s52
	s_mul_hi_u32 s51, s45, s52
	s_add_u32 s48, s49, s48
	s_addc_u32 s49, 0, s55
	s_add_u32 s48, s48, s54
	s_mul_i32 s52, s45, s52
	s_addc_u32 s48, s49, s53
	s_addc_u32 s49, s51, 0
	s_add_u32 s48, s48, s52
	s_addc_u32 s49, 0, s49
	v_add_co_u32 v1, s48, v1, s48
	s_cmp_lg_u32 s48, 0
	s_addc_u32 s45, s45, s49
	v_readfirstlane_b32 s48, v1
	s_mul_i32 s51, s24, s45
	s_mul_hi_u32 s49, s24, s45
	s_mul_hi_u32 s52, s25, s45
	s_mul_i32 s45, s25, s45
	s_mul_hi_u32 s53, s24, s48
	s_mul_hi_u32 s54, s25, s48
	s_mul_i32 s48, s25, s48
	s_add_u32 s51, s53, s51
	s_addc_u32 s49, 0, s49
	s_add_u32 s48, s51, s48
	s_addc_u32 s48, s49, s54
	s_addc_u32 s49, s52, 0
	s_add_u32 s48, s48, s45
	s_addc_u32 s49, 0, s49
	s_mul_hi_u32 s45, s46, s48
	s_mul_i32 s52, s46, s49
	s_mul_i32 s53, s46, s48
	s_add_i32 s45, s45, s52
	v_sub_co_u32 v1, s52, s24, s53
	s_mul_i32 s51, s47, s48
	s_add_i32 s45, s45, s51
	v_sub_co_u32 v2, s53, v1, s46
	s_sub_i32 s51, s25, s45
	s_cmp_lg_u32 s52, 0
	s_subb_u32 s51, s51, s47
	s_cmp_lg_u32 s53, 0
	v_readfirstlane_b32 s53, v2
	s_subb_u32 s51, s51, 0
	s_cmp_ge_u32 s51, s47
	s_cselect_b32 s54, -1, 0
	s_cmp_ge_u32 s53, s46
	s_cselect_b32 s53, -1, 0
	s_cmp_eq_u32 s51, s47
	s_cselect_b32 s51, s53, s54
	s_add_u32 s53, s48, 1
	s_addc_u32 s54, s49, 0
	s_add_u32 s55, s48, 2
	s_addc_u32 s56, s49, 0
	s_cmp_lg_u32 s51, 0
	s_cselect_b32 s51, s55, s53
	s_cselect_b32 s53, s56, s54
	s_cmp_lg_u32 s52, 0
	v_readfirstlane_b32 s52, v1
	s_subb_u32 s45, s25, s45
	s_cmp_ge_u32 s45, s47
	s_cselect_b32 s54, -1, 0
	s_cmp_ge_u32 s52, s46
	s_cselect_b32 s52, -1, 0
	s_cmp_eq_u32 s45, s47
	s_cselect_b32 s45, s52, s54
	s_cmp_lg_u32 s45, 0
	s_mov_b32 s45, 0
	s_cselect_b32 s49, s53, s49
	s_cselect_b32 s48, s51, s48
.LBB0_6:                                ;   in Loop: Header=BB0_4 Depth=1
	s_andn2_b32 vcc_lo, exec_lo, s45
	s_cbranch_vccnz .LBB0_8
; %bb.7:                                ;   in Loop: Header=BB0_4 Depth=1
	v_cvt_f32_u32_e32 v1, s46
	s_sub_i32 s48, 0, s46
	v_rcp_iflag_f32_e32 v1, v1
	v_mul_f32_e32 v1, 0x4f7ffffe, v1
	v_cvt_u32_f32_e32 v1, v1
	v_readfirstlane_b32 s45, v1
	s_mul_i32 s48, s48, s45
	s_mul_hi_u32 s48, s45, s48
	s_add_i32 s45, s45, s48
	s_mul_hi_u32 s45, s24, s45
	s_mul_i32 s48, s45, s46
	s_add_i32 s49, s45, 1
	s_sub_i32 s48, s24, s48
	s_sub_i32 s51, s48, s46
	s_cmp_ge_u32 s48, s46
	s_cselect_b32 s45, s49, s45
	s_cselect_b32 s48, s51, s48
	s_add_i32 s49, s45, 1
	s_cmp_ge_u32 s48, s46
	s_cselect_b32 s48, s49, s45
	s_mov_b32 s49, s44
.LBB0_8:                                ;   in Loop: Header=BB0_4 Depth=1
	s_load_dwordx2 s[52:53], s[40:41], 0x0
	s_load_dwordx2 s[54:55], s[38:39], 0x0
	s_mul_i32 s37, s46, s37
	s_mul_hi_u32 s45, s46, s36
	s_mul_i32 s51, s47, s36
	s_mul_i32 s47, s48, s47
	s_mul_hi_u32 s56, s48, s46
	s_mul_i32 s57, s49, s46
	s_add_i32 s37, s45, s37
	s_add_i32 s45, s56, s47
	s_mul_i32 s58, s48, s46
	s_add_i32 s37, s37, s51
	s_add_i32 s45, s45, s57
	s_sub_u32 s24, s24, s58
	s_subb_u32 s25, s25, s45
	s_mul_i32 s36, s46, s36
	s_waitcnt lgkmcnt(0)
	s_mul_i32 s45, s52, s25
	s_mul_hi_u32 s47, s52, s24
	s_mul_i32 s51, s53, s24
	s_add_i32 s45, s47, s45
	s_mul_i32 s52, s52, s24
	s_mul_i32 s25, s54, s25
	s_mul_hi_u32 s47, s54, s24
	s_add_i32 s45, s45, s51
	s_add_u32 s34, s52, s34
	s_addc_u32 s35, s45, s35
	s_add_i32 s25, s47, s25
	s_mul_i32 s45, s55, s24
	s_mul_i32 s24, s54, s24
	s_add_i32 s25, s25, s45
	s_add_u32 s4, s24, s4
	s_addc_u32 s5, s25, s5
	s_add_u32 s42, s42, 1
	s_addc_u32 s43, s43, 0
	s_add_u32 s38, s38, 8
	v_cmp_ge_u64_e64 s24, s[42:43], s[14:15]
	s_addc_u32 s39, s39, 0
	s_add_u32 s40, s40, 8
	s_addc_u32 s41, s41, 0
	s_add_u32 s16, s16, 8
	s_addc_u32 s17, s17, 0
	s_and_b32 vcc_lo, exec_lo, s24
	s_cbranch_vccnz .LBB0_10
; %bb.9:                                ;   in Loop: Header=BB0_4 Depth=1
	s_mov_b64 s[24:25], s[48:49]
	s_branch .LBB0_4
.LBB0_10:
	v_cmp_lt_u64_e64 s7, s[6:7], s[36:37]
	s_mov_b64 s[24:25], 0
	s_and_b32 vcc_lo, exec_lo, s7
	s_cbranch_vccnz .LBB0_12
; %bb.11:
	v_cvt_f32_u32_e32 v1, s36
	s_sub_i32 s16, 0, s36
	v_rcp_iflag_f32_e32 v1, v1
	v_mul_f32_e32 v1, 0x4f7ffffe, v1
	v_cvt_u32_f32_e32 v1, v1
	v_readfirstlane_b32 s7, v1
	s_mul_i32 s16, s16, s7
	s_mul_hi_u32 s16, s7, s16
	s_add_i32 s7, s7, s16
	s_mul_hi_u32 s7, s6, s7
	s_mul_i32 s16, s7, s36
	s_sub_i32 s6, s6, s16
	s_add_i32 s16, s7, 1
	s_sub_i32 s17, s6, s36
	s_cmp_ge_u32 s6, s36
	s_cselect_b32 s7, s16, s7
	s_cselect_b32 s6, s17, s6
	s_add_i32 s16, s7, 1
	s_cmp_ge_u32 s6, s36
	s_cselect_b32 s24, s16, s7
.LBB0_12:
	v_mul_u32_u24_e32 v1, 0x2aab, v0
	s_lshl_b64 s[14:15], s[14:15], 3
	s_add_u32 s6, s30, s14
	s_addc_u32 s7, s31, s15
	v_lshrrev_b32_e32 v9, 16, v1
	s_add_u32 s16, s50, 6
	v_mul_lo_u16 v1, v9, 6
	v_lshlrev_b32_e32 v12, 2, v9
	v_add_nc_u32_e32 v7, 42, v9
	v_add_nc_u32_e32 v8, 0x54, v9
	;; [unrolled: 1-line block ×3, first 2 shown]
	v_sub_nc_u16 v1, v0, v1
	v_and_b32_e32 v10, 0xffff, v1
	v_add_co_u32 v1, s17, s50, v10
	v_add_co_ci_u32_e64 v2, null, s33, 0, s17
	s_addc_u32 s17, s33, 0
	v_mul_u32_u24_e32 v11, 0x2a0, v10
	v_cmp_le_u64_e64 s16, s[16:17], s[28:29]
	v_cmp_gt_u64_e32 vcc_lo, s[28:29], v[1:2]
	s_or_b32 s16, s16, vcc_lo
	s_and_saveexec_b32 s17, s16
	s_cbranch_execz .LBB0_14
; %bb.13:
	s_add_u32 s14, s18, s14
	s_addc_u32 s15, s19, s15
	v_mad_u64_u32 v[1:2], null, s22, v10, 0
	s_load_dwordx2 s[14:15], s[14:15], 0x0
	v_mad_u64_u32 v[3:4], null, s20, v9, 0
	v_mad_u64_u32 v[13:14], null, s20, v7, 0
	;; [unrolled: 1-line block ×5, first 2 shown]
	v_mov_b32_e32 v5, v14
	v_mad_u64_u32 v[20:21], null, s21, v9, v[4:5]
	v_mov_b32_e32 v2, v19
	v_mad_u64_u32 v[21:22], null, s21, v7, v[5:6]
	s_waitcnt lgkmcnt(0)
	s_mul_i32 s15, s15, s24
	s_mul_hi_u32 s18, s14, s24
	s_mul_i32 s14, s14, s24
	s_add_i32 s15, s18, s15
	v_mov_b32_e32 v5, v16
	s_lshl_b64 s[14:15], s[14:15], 2
	v_lshlrev_b64 v[1:2], 2, v[1:2]
	s_add_u32 s14, s0, s14
	s_addc_u32 s15, s1, s15
	s_lshl_b64 s[0:1], s[34:35], 2
	v_mov_b32_e32 v4, v20
	v_mad_u64_u32 v[19:20], null, s21, v8, v[5:6]
	v_mov_b32_e32 v5, v18
	s_add_u32 s0, s14, s0
	s_addc_u32 s1, s15, s1
	v_add_co_u32 v20, vcc_lo, s0, v1
	v_mov_b32_e32 v14, v21
	v_add_co_ci_u32_e32 v21, vcc_lo, s1, v2, vcc_lo
	v_lshlrev_b64 v[1:2], 2, v[3:4]
	v_mad_u64_u32 v[3:4], null, s21, v6, v[5:6]
	v_mov_b32_e32 v16, v19
	v_lshlrev_b64 v[4:5], 2, v[13:14]
	v_add_co_u32 v1, vcc_lo, v20, v1
	v_lshlrev_b64 v[13:14], 2, v[15:16]
	v_mov_b32_e32 v18, v3
	v_add_co_ci_u32_e32 v2, vcc_lo, v21, v2, vcc_lo
	v_add_co_u32 v3, vcc_lo, v20, v4
	v_lshlrev_b64 v[15:16], 2, v[17:18]
	v_add_co_ci_u32_e32 v4, vcc_lo, v21, v5, vcc_lo
	v_add_co_u32 v13, vcc_lo, v20, v13
	v_add_co_ci_u32_e32 v14, vcc_lo, v21, v14, vcc_lo
	v_add_co_u32 v15, vcc_lo, v20, v15
	v_add_co_ci_u32_e32 v16, vcc_lo, v21, v16, vcc_lo
	s_clause 0x3
	global_load_dword v1, v[1:2], off
	global_load_dword v2, v[3:4], off
	;; [unrolled: 1-line block ×4, first 2 shown]
	v_add3_u32 v5, 0, v11, v12
	s_waitcnt vmcnt(2)
	ds_write2_b32 v5, v1, v2 offset1:42
	s_waitcnt vmcnt(0)
	ds_write2_b32 v5, v3, v4 offset0:84 offset1:126
.LBB0_14:
	s_or_b32 exec_lo, exec_lo, s17
	s_add_u32 s0, 0, 0xaaa80000
	s_addc_u32 s1, 0, 0xaa
	s_mul_hi_u32 s15, s0, -6
	s_add_i32 s1, s1, 0x2aaaaa00
	v_mov_b32_e32 v1, 0x619
	s_sub_i32 s15, s15, s0
	s_mul_i32 s18, s1, -6
	s_mul_i32 s14, s0, -6
	s_add_i32 s15, s15, s18
	s_mul_hi_u32 s17, s1, s14
	s_mul_i32 s18, s1, s14
	s_mul_i32 s19, s0, s15
	s_mul_hi_u32 s14, s0, s14
	v_mul_u32_u24_sdwa v1, v0, v1 dst_sel:DWORD dst_unused:UNUSED_PAD src0_sel:WORD_0 src1_sel:DWORD
	s_mul_hi_u32 s20, s0, s15
	s_add_u32 s14, s14, s19
	s_addc_u32 s19, 0, s20
	s_mul_hi_u32 s20, s1, s15
	s_add_u32 s14, s14, s18
	s_addc_u32 s14, s19, s17
	s_mul_i32 s15, s1, s15
	v_lshrrev_b32_e32 v5, 16, v1
	s_addc_u32 s17, s20, 0
	s_add_u32 s14, s14, s15
	s_waitcnt lgkmcnt(0)
	v_add_co_u32 v3, s0, s0, s14
	s_addc_u32 s14, 0, s17
	s_cmp_lg_u32 s0, 0
	v_add_co_u32 v14, s0, s50, v5
	v_add_co_ci_u32_e64 v13, null, s33, 0, s0
	s_addc_u32 s0, s1, s14
	v_mul_hi_u32 v15, v14, v3
	v_mad_u64_u32 v[1:2], null, v14, s0, 0
	v_mad_u64_u32 v[3:4], null, v13, v3, 0
	v_mul_lo_u16 v5, v5, 42
	s_barrier
	buffer_gl0_inv
	v_add_co_u32 v15, vcc_lo, v15, v1
	v_add_co_ci_u32_e32 v16, vcc_lo, 0, v2, vcc_lo
	v_mad_u64_u32 v[1:2], null, v13, s0, 0
	v_add_co_u32 v3, vcc_lo, v15, v3
	v_add_co_ci_u32_e32 v3, vcc_lo, v16, v4, vcc_lo
	v_sub_nc_u16 v16, v0, v5
	v_add_co_ci_u32_e32 v2, vcc_lo, 0, v2, vcc_lo
	v_add_co_u32 v1, vcc_lo, v3, v1
	v_cmp_gt_u16_e64 s0, 24, v16
	v_add_co_ci_u32_e32 v3, vcc_lo, 0, v2, vcc_lo
	v_mad_u64_u32 v[1:2], null, v1, 6, 0
	v_mad_u64_u32 v[2:3], null, v3, 6, v[2:3]
	v_sub_co_u32 v1, vcc_lo, v14, v1
	v_sub_co_ci_u32_e32 v2, vcc_lo, v13, v2, vcc_lo
	v_sub_co_u32 v3, vcc_lo, v1, 6
	v_subrev_co_ci_u32_e32 v4, vcc_lo, 0, v2, vcc_lo
	v_cmp_lt_u32_e32 vcc_lo, 5, v3
	v_cndmask_b32_e64 v13, 0, -1, vcc_lo
	v_cmp_lt_u32_e32 vcc_lo, 5, v1
	v_cndmask_b32_e64 v15, 0, -1, vcc_lo
	v_cmp_eq_u32_e32 vcc_lo, 0, v4
	v_cndmask_b32_e32 v4, -1, v13, vcc_lo
	v_cmp_eq_u32_e32 vcc_lo, 0, v2
	v_add_nc_u32_e32 v13, -6, v3
	v_cndmask_b32_e32 v0, -1, v15, vcc_lo
	v_cmp_ne_u32_e32 vcc_lo, 0, v4
	v_and_b32_e32 v15, 0xffff, v16
	v_cndmask_b32_e32 v2, v3, v13, vcc_lo
	v_cmp_ne_u32_e32 vcc_lo, 0, v0
	v_lshlrev_b32_e32 v17, 2, v15
	v_cndmask_b32_e32 v0, v1, v2, vcc_lo
	v_add_nc_u32_e32 v18, 0, v17
	v_mul_u32_u24_e32 v27, 0xa8, v0
	v_lshlrev_b32_e32 v19, 2, v27
	v_lshlrev_b32_e32 v16, 1, v27
	v_add_nc_u32_e32 v13, v18, v19
	ds_read2_b32 v[0:1], v13 offset0:24 offset1:48
	ds_read2_b32 v[4:5], v13 offset0:120 offset1:144
	;; [unrolled: 1-line block ×3, first 2 shown]
	v_add3_u32 v17, 0, v19, v17
	ds_read_b32 v24, v17
	s_waitcnt lgkmcnt(2)
	v_add_f16_e32 v17, v0, v5
	v_add_f16_e32 v19, v1, v4
	v_sub_f16_sdwa v20, v0, v5 dst_sel:DWORD dst_unused:UNUSED_PAD src0_sel:WORD_1 src1_sel:WORD_1
	s_waitcnt lgkmcnt(1)
	v_add_f16_e32 v21, v2, v3
	v_sub_f16_sdwa v22, v1, v4 dst_sel:DWORD dst_unused:UNUSED_PAD src0_sel:WORD_1 src1_sel:WORD_1
	v_sub_f16_sdwa v23, v3, v2 dst_sel:DWORD dst_unused:UNUSED_PAD src0_sel:WORD_1 src1_sel:WORD_1
	v_add_f16_e32 v25, v19, v17
	v_sub_f16_e32 v26, v19, v17
	v_sub_f16_e32 v17, v17, v21
	;; [unrolled: 1-line block ×3, first 2 shown]
	v_add_f16_e32 v28, v23, v22
	v_sub_f16_e32 v29, v23, v22
	v_sub_f16_e32 v22, v22, v20
	v_add_f16_e32 v21, v21, v25
	v_sub_f16_e32 v23, v20, v23
	v_add_f16_e32 v20, v28, v20
	v_mul_f16_e32 v28, 0x3a52, v17
	v_mul_f16_e32 v25, 0x2b26, v19
	;; [unrolled: 1-line block ×4, first 2 shown]
	s_waitcnt lgkmcnt(0)
	v_add_f16_e32 v17, v24, v21
	v_fmamk_f16 v19, v19, 0x2b26, v28
	v_fma_f16 v31, v26, 0x39e0, -v25
	v_fmamk_f16 v25, v23, 0xb574, v29
	v_fma_f16 v29, v22, 0xbb00, -v29
	v_fma_f16 v23, v23, 0x3574, -v30
	v_fmamk_f16 v21, v21, 0xbcab, v17
	v_fma_f16 v22, v26, 0xb9e0, -v28
	v_fmac_f16_e32 v25, 0xb70e, v20
	v_fmac_f16_e32 v29, 0xb70e, v20
	;; [unrolled: 1-line block ×3, first 2 shown]
	v_add_f16_e32 v26, v19, v21
	v_add_f16_e32 v28, v22, v21
	;; [unrolled: 1-line block ×5, first 2 shown]
	v_sub_f16_e32 v22, v19, v29
	v_add_f16_e32 v19, v29, v19
	v_sub_f16_e32 v23, v28, v23
	s_and_saveexec_b32 s1, s0
	s_cbranch_execz .LBB0_16
; %bb.15:
	v_mul_u32_u24_e32 v30, 10, v15
	v_perm_b32 v29, v23, v19, 0x5040100
	v_perm_b32 v28, v22, v20, 0x5040100
	;; [unrolled: 1-line block ×3, first 2 shown]
	v_sub_f16_e32 v25, v26, v25
	v_add3_u32 v18, v18, v30, v16
	ds_write_b96 v18, v[27:29]
	ds_write_b16 v18, v25 offset:12
.LBB0_16:
	s_or_b32 exec_lo, exec_lo, s1
	v_cmp_gt_u16_e32 vcc_lo, 28, v15
	v_lshlrev_b32_e32 v18, 1, v15
	s_waitcnt lgkmcnt(0)
	s_barrier
	buffer_gl0_inv
	s_and_saveexec_b32 s1, vcc_lo
	s_cbranch_execz .LBB0_18
; %bb.17:
	v_add3_u32 v17, 0, v16, v18
	v_add3_u32 v23, 0, v18, v16
	ds_read_u16 v17, v17
	ds_read_u16 v21, v23 offset:56
	ds_read_u16 v20, v23 offset:112
	;; [unrolled: 1-line block ×5, first 2 shown]
.LBB0_18:
	s_or_b32 exec_lo, exec_lo, s1
	v_add_f16_sdwa v25, v0, v5 dst_sel:DWORD dst_unused:UNUSED_PAD src0_sel:WORD_1 src1_sel:WORD_1
	v_add_f16_sdwa v26, v1, v4 dst_sel:DWORD dst_unused:UNUSED_PAD src0_sel:WORD_1 src1_sel:WORD_1
	v_sub_f16_e32 v0, v0, v5
	v_add_f16_sdwa v5, v2, v3 dst_sel:DWORD dst_unused:UNUSED_PAD src0_sel:WORD_1 src1_sel:WORD_1
	v_sub_f16_e32 v1, v1, v4
	v_sub_f16_e32 v2, v3, v2
	v_add_f16_e32 v3, v26, v25
	v_sub_f16_e32 v4, v26, v25
	v_sub_f16_e32 v25, v25, v5
	;; [unrolled: 1-line block ×3, first 2 shown]
	v_add_f16_e32 v27, v2, v1
	v_add_f16_e32 v3, v5, v3
	v_sub_f16_e32 v5, v2, v1
	v_sub_f16_e32 v1, v1, v0
	;; [unrolled: 1-line block ×3, first 2 shown]
	v_add_f16_e32 v27, v27, v0
	v_add_f16_sdwa v0, v24, v3 dst_sel:DWORD dst_unused:UNUSED_PAD src0_sel:WORD_1 src1_sel:DWORD
	v_mul_f16_e32 v24, 0x3a52, v25
	v_mul_f16_e32 v25, 0x2b26, v26
	;; [unrolled: 1-line block ×4, first 2 shown]
	v_fmamk_f16 v3, v3, 0xbcab, v0
	v_fmamk_f16 v26, v26, 0x2b26, v24
	v_fma_f16 v29, v4, 0x39e0, -v25
	v_fma_f16 v4, v4, 0xb9e0, -v24
	v_fmamk_f16 v24, v2, 0xb574, v5
	v_fma_f16 v1, v1, 0xbb00, -v5
	v_fma_f16 v5, v2, 0x3574, -v28
	v_add_f16_e32 v25, v26, v3
	v_add_f16_e32 v26, v29, v3
	;; [unrolled: 1-line block ×3, first 2 shown]
	v_fmac_f16_e32 v24, 0xb70e, v27
	v_fmac_f16_e32 v5, 0xb70e, v27
	;; [unrolled: 1-line block ×3, first 2 shown]
	s_waitcnt lgkmcnt(0)
	s_barrier
	v_sub_f16_e32 v3, v25, v24
	v_sub_f16_e32 v2, v28, v5
	v_add_f16_e32 v4, v1, v26
	v_sub_f16_e32 v1, v26, v1
	v_add_f16_e32 v5, v5, v28
	buffer_gl0_inv
	s_and_saveexec_b32 s1, s0
	s_cbranch_execz .LBB0_20
; %bb.19:
	v_mul_u32_u24_e32 v29, 14, v15
	v_perm_b32 v28, v5, v1, 0x5040100
	v_perm_b32 v27, v4, v2, 0x5040100
	;; [unrolled: 1-line block ×3, first 2 shown]
	v_add_f16_e32 v24, v24, v25
	v_add3_u32 v29, 0, v29, v16
	ds_write_b96 v29, v[26:28]
	ds_write_b16 v29, v24 offset:12
.LBB0_20:
	s_or_b32 exec_lo, exec_lo, s1
	s_waitcnt lgkmcnt(0)
	s_barrier
	buffer_gl0_inv
	s_and_saveexec_b32 s0, vcc_lo
	s_cbranch_execz .LBB0_22
; %bb.21:
	v_add3_u32 v0, 0, v16, v18
	v_add3_u32 v5, 0, v18, v16
	ds_read_u16 v0, v0
	ds_read_u16 v3, v5 offset:56
	ds_read_u16 v2, v5 offset:112
	;; [unrolled: 1-line block ×5, first 2 shown]
.LBB0_22:
	s_or_b32 exec_lo, exec_lo, s0
	v_and_b32_e32 v24, 0xff, v15
	v_mul_lo_u16 v24, v24, 37
	v_lshrrev_b16 v24, 8, v24
	v_sub_nc_u16 v25, v15, v24
	v_lshrrev_b16 v25, 1, v25
	v_and_b32_e32 v25, 0x7f, v25
	v_add_nc_u16 v24, v25, v24
	v_mov_b32_e32 v25, 5
	v_lshrrev_b16 v35, 2, v24
	v_mul_lo_u16 v24, v35, 7
	v_sub_nc_u16 v24, v15, v24
	v_mul_u32_u24_sdwa v25, v24, v25 dst_sel:DWORD dst_unused:UNUSED_PAD src0_sel:BYTE_0 src1_sel:DWORD
	v_lshlrev_b32_e32 v25, 2, v25
	s_clause 0x1
	global_load_dwordx4 v[28:31], v25, s[26:27]
	global_load_dword v27, v25, s[26:27] offset:16
	s_waitcnt vmcnt(0) lgkmcnt(0)
	s_barrier
	buffer_gl0_inv
	v_mul_f16_sdwa v34, v4, v30 dst_sel:DWORD dst_unused:UNUSED_PAD src0_sel:DWORD src1_sel:WORD_1
	v_mul_f16_sdwa v38, v22, v30 dst_sel:DWORD dst_unused:UNUSED_PAD src0_sel:DWORD src1_sel:WORD_1
	;; [unrolled: 1-line block ×6, first 2 shown]
	v_fmac_f16_e32 v34, v22, v30
	v_fmac_f16_e32 v32, v23, v27
	v_fma_f16 v23, v4, v30, -v38
	v_fma_f16 v22, v5, v27, -v39
	v_mul_f16_sdwa v25, v2, v29 dst_sel:DWORD dst_unused:UNUSED_PAD src0_sel:DWORD src1_sel:WORD_1
	v_mul_f16_sdwa v37, v20, v29 dst_sel:DWORD dst_unused:UNUSED_PAD src0_sel:DWORD src1_sel:WORD_1
	v_fmac_f16_e32 v33, v21, v28
	v_fma_f16 v27, v3, v28, -v36
	v_add_f16_e32 v3, v34, v32
	v_add_f16_e32 v4, v23, v22
	v_mul_f16_sdwa v26, v1, v31 dst_sel:DWORD dst_unused:UNUSED_PAD src0_sel:DWORD src1_sel:WORD_1
	v_mul_f16_sdwa v40, v19, v31 dst_sel:DWORD dst_unused:UNUSED_PAD src0_sel:DWORD src1_sel:WORD_1
	v_fmac_f16_e32 v25, v20, v29
	v_fma_f16 v30, v2, v29, -v37
	v_sub_f16_e32 v2, v23, v22
	v_fma_f16 v20, -0.5, v3, v33
	v_sub_f16_e32 v3, v34, v32
	v_fma_f16 v29, -0.5, v4, v27
	v_fmac_f16_e32 v26, v19, v31
	v_fma_f16 v21, v1, v31, -v40
	v_fmamk_f16 v19, v2, 0xbaee, v20
	v_fmac_f16_e32 v20, 0x3aee, v2
	v_fmamk_f16 v31, v3, 0x3aee, v29
	v_fmac_f16_e32 v29, 0xbaee, v3
	v_and_b32_e32 v28, 0xffff, v35
	s_and_saveexec_b32 s0, vcc_lo
	s_cbranch_execz .LBB0_24
; %bb.23:
	v_add_f16_e32 v1, v25, v26
	v_sub_f16_e32 v2, v30, v21
	v_add_f16_e32 v5, v17, v25
	v_mul_f16_e32 v4, 0xbaee, v31
	v_mul_f16_e32 v3, 0xbaee, v29
	v_fma_f16 v1, -0.5, v1, v17
	v_add_f16_e32 v17, v33, v34
	v_mov_b32_e32 v33, 1
	v_fmac_f16_e32 v4, 0.5, v19
	v_fmac_f16_e32 v3, -0.5, v20
	v_fmamk_f16 v34, v2, 0x3aee, v1
	v_fmac_f16_e32 v1, 0xbaee, v2
	v_add_f16_e32 v2, v5, v26
	v_add_f16_e32 v5, v17, v32
	v_mad_u32_u24 v17, 0x54, v28, 0
	v_lshlrev_b32_sdwa v32, v33, v24 dst_sel:DWORD dst_unused:UNUSED_PAD src0_sel:DWORD src1_sel:BYTE_0
	v_sub_f16_e32 v33, v34, v3
	v_add_f16_e32 v3, v34, v3
	v_add_f16_e32 v35, v2, v5
	v_sub_f16_e32 v2, v2, v5
	v_add3_u32 v17, v17, v32, v16
	v_add_f16_e32 v32, v1, v4
	v_sub_f16_e32 v1, v1, v4
	ds_write_b16 v17, v35
	ds_write_b16 v17, v32 offset:14
	ds_write_b16 v17, v3 offset:28
	;; [unrolled: 1-line block ×5, first 2 shown]
.LBB0_24:
	s_or_b32 exec_lo, exec_lo, s0
	v_add3_u32 v5, 0, v16, v18
	v_add3_u32 v17, 0, v18, v16
	s_waitcnt lgkmcnt(0)
	s_barrier
	buffer_gl0_inv
	ds_read_u16 v1, v5
	ds_read_u16 v4, v17 offset:84
	ds_read_u16 v3, v17 offset:168
	;; [unrolled: 1-line block ×3, first 2 shown]
	s_waitcnt lgkmcnt(0)
	s_barrier
	buffer_gl0_inv
	s_and_saveexec_b32 s0, vcc_lo
	s_cbranch_execz .LBB0_26
; %bb.25:
	v_add_f16_e32 v18, v30, v21
	v_add_f16_e32 v30, v0, v30
	;; [unrolled: 1-line block ×3, first 2 shown]
	v_mov_b32_e32 v27, 1
	v_sub_f16_e32 v25, v25, v26
	v_fmac_f16_e32 v0, -0.5, v18
	v_mul_f16_e32 v18, 0.5, v31
	v_mul_f16_e32 v26, -0.5, v29
	v_add_f16_e32 v21, v30, v21
	v_add_f16_e32 v22, v23, v22
	v_lshlrev_b32_sdwa v23, v27, v24 dst_sel:DWORD dst_unused:UNUSED_PAD src0_sel:DWORD src1_sel:BYTE_0
	v_fmac_f16_e32 v18, 0x3aee, v19
	v_mad_u32_u24 v19, 0x54, v28, 0
	v_fmamk_f16 v29, v25, 0x3aee, v0
	v_fmamk_f16 v0, v25, 0xbaee, v0
	v_fmac_f16_e32 v26, 0x3aee, v20
	v_add_f16_e32 v20, v21, v22
	v_add3_u32 v16, v19, v23, v16
	v_add_f16_e32 v24, v29, v18
	v_sub_f16_e32 v21, v21, v22
	v_add_f16_e32 v19, v0, v26
	v_sub_f16_e32 v18, v29, v18
	v_sub_f16_e32 v0, v0, v26
	ds_write_b16 v16, v20
	ds_write_b16 v16, v24 offset:14
	ds_write_b16 v16, v19 offset:28
	;; [unrolled: 1-line block ×5, first 2 shown]
.LBB0_26:
	s_or_b32 exec_lo, exec_lo, s0
	v_mul_u32_u24_e32 v0, 3, v15
	v_mul_lo_u32 v16, v14, v15
	v_add_nc_u32_e32 v22, 42, v15
	s_load_dwordx2 s[0:1], s[6:7], 0x0
	s_waitcnt lgkmcnt(0)
	v_lshlrev_b32_e32 v0, 2, v0
	v_mov_b32_e32 v21, 2
	s_barrier
	buffer_gl0_inv
	v_mul_lo_u32 v22, v14, v22
	global_load_dwordx3 v[18:20], v0, s[26:27] offset:140
	v_add_nc_u32_e32 v0, 0x54, v15
	v_add_nc_u32_e32 v15, 0x7e, v15
	v_lshlrev_b32_sdwa v23, v21, v16 dst_sel:DWORD dst_unused:UNUSED_PAD src0_sel:DWORD src1_sel:BYTE_0
	v_lshlrev_b32_sdwa v16, v21, v16 dst_sel:DWORD dst_unused:UNUSED_PAD src0_sel:DWORD src1_sel:BYTE_1
	v_mul_lo_u32 v0, v14, v0
	v_mul_lo_u32 v14, v14, v15
	s_clause 0x1
	global_load_dword v15, v23, s[12:13]
	global_load_dword v16, v16, s[12:13] offset:1024
	v_lshlrev_b32_sdwa v23, v21, v22 dst_sel:DWORD dst_unused:UNUSED_PAD src0_sel:DWORD src1_sel:BYTE_0
	v_lshlrev_b32_sdwa v22, v21, v22 dst_sel:DWORD dst_unused:UNUSED_PAD src0_sel:DWORD src1_sel:BYTE_1
	v_lshlrev_b32_sdwa v24, v21, v0 dst_sel:DWORD dst_unused:UNUSED_PAD src0_sel:DWORD src1_sel:BYTE_0
	v_lshlrev_b32_sdwa v0, v21, v0 dst_sel:DWORD dst_unused:UNUSED_PAD src0_sel:DWORD src1_sel:BYTE_1
	;; [unrolled: 2-line block ×3, first 2 shown]
	s_clause 0x5
	global_load_dword v21, v23, s[12:13]
	global_load_dword v22, v22, s[12:13] offset:1024
	global_load_dword v23, v24, s[12:13]
	global_load_dword v0, v0, s[12:13] offset:1024
	global_load_dword v24, v25, s[12:13]
	global_load_dword v14, v14, s[12:13] offset:1024
	ds_read_u16 v25, v17 offset:84
	ds_read_u16 v26, v17 offset:168
	ds_read_u16 v17, v17 offset:252
	ds_read_u16 v5, v5
	s_waitcnt vmcnt(0) lgkmcnt(0)
	s_barrier
	buffer_gl0_inv
	v_mul_f16_sdwa v27, v25, v18 dst_sel:DWORD dst_unused:UNUSED_PAD src0_sel:DWORD src1_sel:WORD_1
	v_mul_f16_sdwa v28, v4, v18 dst_sel:DWORD dst_unused:UNUSED_PAD src0_sel:DWORD src1_sel:WORD_1
	;; [unrolled: 1-line block ×6, first 2 shown]
	v_fmac_f16_e32 v27, v4, v18
	v_lshrrev_b32_e32 v33, 16, v15
	v_fma_f16 v4, v25, v18, -v28
	v_fmac_f16_e32 v29, v3, v19
	v_fma_f16 v3, v26, v19, -v30
	v_fmac_f16_e32 v31, v2, v20
	v_fma_f16 v2, v17, v20, -v32
	v_mul_f16_sdwa v17, v33, v16 dst_sel:DWORD dst_unused:UNUSED_PAD src0_sel:DWORD src1_sel:WORD_1
	v_sub_f16_e32 v29, v1, v29
	v_lshrrev_b32_e32 v20, 16, v23
	v_mul_f16_sdwa v25, v23, v0 dst_sel:DWORD dst_unused:UNUSED_PAD src0_sel:DWORD src1_sel:WORD_1
	v_sub_f16_e32 v3, v5, v3
	v_sub_f16_e32 v30, v27, v31
	;; [unrolled: 1-line block ×3, first 2 shown]
	v_mul_f16_sdwa v34, v15, v16 dst_sel:DWORD dst_unused:UNUSED_PAD src0_sel:DWORD src1_sel:WORD_1
	v_lshrrev_b32_e32 v18, 16, v21
	v_mul_f16_sdwa v19, v21, v22 dst_sel:DWORD dst_unused:UNUSED_PAD src0_sel:DWORD src1_sel:WORD_1
	v_lshrrev_b32_e32 v26, 16, v24
	v_mul_f16_sdwa v28, v24, v14 dst_sel:DWORD dst_unused:UNUSED_PAD src0_sel:DWORD src1_sel:WORD_1
	v_fma_f16 v15, v15, v16, -v17
	v_mul_f16_sdwa v17, v20, v0 dst_sel:DWORD dst_unused:UNUSED_PAD src0_sel:DWORD src1_sel:WORD_1
	v_fmac_f16_e32 v25, v20, v0
	v_fma_f16 v1, v1, 2.0, -v29
	v_fma_f16 v5, v5, 2.0, -v3
	;; [unrolled: 1-line block ×4, first 2 shown]
	v_fmac_f16_e32 v34, v33, v16
	v_mul_f16_sdwa v16, v18, v22 dst_sel:DWORD dst_unused:UNUSED_PAD src0_sel:DWORD src1_sel:WORD_1
	v_fmac_f16_e32 v19, v18, v22
	v_mul_f16_sdwa v18, v26, v14 dst_sel:DWORD dst_unused:UNUSED_PAD src0_sel:DWORD src1_sel:WORD_1
	v_fmac_f16_e32 v28, v26, v14
	v_add_f16_e32 v2, v29, v2
	v_sub_f16_e32 v26, v3, v30
	v_fma_f16 v0, v23, v0, -v17
	v_sub_f16_e32 v17, v1, v20
	v_sub_f16_e32 v4, v5, v4
	v_fma_f16 v16, v21, v22, -v16
	v_fma_f16 v14, v24, v14, -v18
	v_fma_f16 v18, v29, 2.0, -v2
	v_fma_f16 v3, v3, 2.0, -v26
	v_mul_f16_e32 v20, v26, v28
	v_mul_f16_e32 v21, v2, v28
	v_fma_f16 v1, v1, 2.0, -v17
	v_fma_f16 v5, v5, 2.0, -v4
	v_mul_f16_e32 v23, v4, v25
	v_mul_f16_e32 v24, v17, v25
	;; [unrolled: 1-line block ×4, first 2 shown]
	v_fmac_f16_e32 v20, v2, v14
	v_fma_f16 v2, v26, v14, -v21
	v_mul_f16_e32 v14, v5, v34
	v_mul_f16_e32 v21, v1, v34
	v_fmac_f16_e32 v23, v17, v0
	v_fma_f16 v0, v4, v0, -v24
	v_fmac_f16_e32 v22, v18, v16
	v_fma_f16 v3, v3, v16, -v19
	;; [unrolled: 2-line block ×3, first 2 shown]
	v_pack_b32_f16 v2, v20, v2
	v_pack_b32_f16 v0, v23, v0
	;; [unrolled: 1-line block ×4, first 2 shown]
	ds_write2_b32 v13, v0, v2 offset0:84 offset1:126
	ds_write2_b32 v13, v1, v3 offset1:42
	s_waitcnt lgkmcnt(0)
	s_barrier
	buffer_gl0_inv
	s_and_saveexec_b32 s6, s16
	s_cbranch_execz .LBB0_28
; %bb.27:
	v_mad_u64_u32 v[0:1], null, s10, v10, 0
	v_mad_u64_u32 v[2:3], null, s8, v9, 0
	v_add3_u32 v17, 0, v11, v12
	s_mul_i32 s1, s1, s24
	s_mul_hi_u32 s6, s0, s24
	s_mul_i32 s0, s0, s24
	s_add_i32 s1, s6, s1
	ds_read2_b32 v[11:12], v17 offset1:42
	v_mad_u64_u32 v[4:5], null, s11, v10, v[1:2]
	s_lshl_b64 s[0:1], s[0:1], 2
	v_mad_u64_u32 v[13:14], null, s8, v6, 0
	s_add_u32 s2, s2, s0
	s_addc_u32 s3, s3, s1
	s_lshl_b64 s[0:1], s[4:5], 2
	v_mad_u64_u32 v[9:10], null, s9, v9, v[3:4]
	v_mov_b32_e32 v1, v4
	v_mad_u64_u32 v[4:5], null, s8, v7, 0
	s_add_u32 s0, s2, s0
	s_addc_u32 s1, s3, s1
	v_lshlrev_b64 v[0:1], 2, v[0:1]
	v_mov_b32_e32 v3, v9
	v_mad_u64_u32 v[9:10], null, s8, v8, 0
	v_mad_u64_u32 v[15:16], null, s9, v7, v[5:6]
	v_add_co_u32 v16, vcc_lo, s0, v0
	v_add_co_ci_u32_e32 v18, vcc_lo, s1, v1, vcc_lo
	s_waitcnt lgkmcnt(0)
	v_mad_u64_u32 v[7:8], null, s9, v8, v[10:11]
	v_lshlrev_b64 v[1:2], 2, v[2:3]
	v_mov_b32_e32 v0, v14
	v_mov_b32_e32 v5, v15
	v_mov_b32_e32 v10, v7
	v_mad_u64_u32 v[6:7], null, s9, v6, v[0:1]
	v_add_co_u32 v0, vcc_lo, v16, v1
	v_add_co_ci_u32_e32 v1, vcc_lo, v18, v2, vcc_lo
	v_lshlrev_b64 v[2:3], 2, v[4:5]
	ds_read2_b32 v[4:5], v17 offset0:84 offset1:126
	v_mov_b32_e32 v14, v6
	v_lshlrev_b64 v[7:8], 2, v[9:10]
	v_add_co_u32 v2, vcc_lo, v16, v2
	v_lshlrev_b64 v[9:10], 2, v[13:14]
	v_add_co_ci_u32_e32 v3, vcc_lo, v18, v3, vcc_lo
	v_add_co_u32 v6, vcc_lo, v16, v7
	v_add_co_ci_u32_e32 v7, vcc_lo, v18, v8, vcc_lo
	v_add_co_u32 v8, vcc_lo, v16, v9
	v_add_co_ci_u32_e32 v9, vcc_lo, v18, v10, vcc_lo
	global_store_dword v[0:1], v11, off
	global_store_dword v[2:3], v12, off
	s_waitcnt lgkmcnt(0)
	global_store_dword v[6:7], v4, off
	global_store_dword v[8:9], v5, off
.LBB0_28:
	s_endpgm
	.section	.rodata,"a",@progbits
	.p2align	6, 0x0
	.amdhsa_kernel fft_rtc_back_len168_factors_7_6_4_wgs_252_tpt_42_halfLds_half_op_CI_CI_sbcc_twdbase8_2step
		.amdhsa_group_segment_fixed_size 0
		.amdhsa_private_segment_fixed_size 0
		.amdhsa_kernarg_size 112
		.amdhsa_user_sgpr_count 6
		.amdhsa_user_sgpr_private_segment_buffer 1
		.amdhsa_user_sgpr_dispatch_ptr 0
		.amdhsa_user_sgpr_queue_ptr 0
		.amdhsa_user_sgpr_kernarg_segment_ptr 1
		.amdhsa_user_sgpr_dispatch_id 0
		.amdhsa_user_sgpr_flat_scratch_init 0
		.amdhsa_user_sgpr_private_segment_size 0
		.amdhsa_wavefront_size32 1
		.amdhsa_uses_dynamic_stack 0
		.amdhsa_system_sgpr_private_segment_wavefront_offset 0
		.amdhsa_system_sgpr_workgroup_id_x 1
		.amdhsa_system_sgpr_workgroup_id_y 0
		.amdhsa_system_sgpr_workgroup_id_z 0
		.amdhsa_system_sgpr_workgroup_info 0
		.amdhsa_system_vgpr_workitem_id 0
		.amdhsa_next_free_vgpr 41
		.amdhsa_next_free_sgpr 59
		.amdhsa_reserve_vcc 1
		.amdhsa_reserve_flat_scratch 0
		.amdhsa_float_round_mode_32 0
		.amdhsa_float_round_mode_16_64 0
		.amdhsa_float_denorm_mode_32 3
		.amdhsa_float_denorm_mode_16_64 3
		.amdhsa_dx10_clamp 1
		.amdhsa_ieee_mode 1
		.amdhsa_fp16_overflow 0
		.amdhsa_workgroup_processor_mode 1
		.amdhsa_memory_ordered 1
		.amdhsa_forward_progress 0
		.amdhsa_shared_vgpr_count 0
		.amdhsa_exception_fp_ieee_invalid_op 0
		.amdhsa_exception_fp_denorm_src 0
		.amdhsa_exception_fp_ieee_div_zero 0
		.amdhsa_exception_fp_ieee_overflow 0
		.amdhsa_exception_fp_ieee_underflow 0
		.amdhsa_exception_fp_ieee_inexact 0
		.amdhsa_exception_int_div_zero 0
	.end_amdhsa_kernel
	.text
.Lfunc_end0:
	.size	fft_rtc_back_len168_factors_7_6_4_wgs_252_tpt_42_halfLds_half_op_CI_CI_sbcc_twdbase8_2step, .Lfunc_end0-fft_rtc_back_len168_factors_7_6_4_wgs_252_tpt_42_halfLds_half_op_CI_CI_sbcc_twdbase8_2step
                                        ; -- End function
	.section	.AMDGPU.csdata,"",@progbits
; Kernel info:
; codeLenInByte = 5200
; NumSgprs: 61
; NumVgprs: 41
; ScratchSize: 0
; MemoryBound: 0
; FloatMode: 240
; IeeeMode: 1
; LDSByteSize: 0 bytes/workgroup (compile time only)
; SGPRBlocks: 7
; VGPRBlocks: 5
; NumSGPRsForWavesPerEU: 61
; NumVGPRsForWavesPerEU: 41
; Occupancy: 16
; WaveLimiterHint : 1
; COMPUTE_PGM_RSRC2:SCRATCH_EN: 0
; COMPUTE_PGM_RSRC2:USER_SGPR: 6
; COMPUTE_PGM_RSRC2:TRAP_HANDLER: 0
; COMPUTE_PGM_RSRC2:TGID_X_EN: 1
; COMPUTE_PGM_RSRC2:TGID_Y_EN: 0
; COMPUTE_PGM_RSRC2:TGID_Z_EN: 0
; COMPUTE_PGM_RSRC2:TIDIG_COMP_CNT: 0
	.text
	.p2alignl 6, 3214868480
	.fill 48, 4, 3214868480
	.type	__hip_cuid_231982ff06d900c1,@object ; @__hip_cuid_231982ff06d900c1
	.section	.bss,"aw",@nobits
	.globl	__hip_cuid_231982ff06d900c1
__hip_cuid_231982ff06d900c1:
	.byte	0                               ; 0x0
	.size	__hip_cuid_231982ff06d900c1, 1

	.ident	"AMD clang version 19.0.0git (https://github.com/RadeonOpenCompute/llvm-project roc-6.4.0 25133 c7fe45cf4b819c5991fe208aaa96edf142730f1d)"
	.section	".note.GNU-stack","",@progbits
	.addrsig
	.addrsig_sym __hip_cuid_231982ff06d900c1
	.amdgpu_metadata
---
amdhsa.kernels:
  - .args:
      - .actual_access:  read_only
        .address_space:  global
        .offset:         0
        .size:           8
        .value_kind:     global_buffer
      - .address_space:  global
        .offset:         8
        .size:           8
        .value_kind:     global_buffer
      - .offset:         16
        .size:           8
        .value_kind:     by_value
      - .actual_access:  read_only
        .address_space:  global
        .offset:         24
        .size:           8
        .value_kind:     global_buffer
      - .actual_access:  read_only
        .address_space:  global
        .offset:         32
        .size:           8
        .value_kind:     global_buffer
      - .actual_access:  read_only
        .address_space:  global
        .offset:         40
        .size:           8
        .value_kind:     global_buffer
      - .offset:         48
        .size:           8
        .value_kind:     by_value
      - .actual_access:  read_only
        .address_space:  global
        .offset:         56
        .size:           8
        .value_kind:     global_buffer
      - .actual_access:  read_only
        .address_space:  global
        .offset:         64
        .size:           8
        .value_kind:     global_buffer
      - .offset:         72
        .size:           4
        .value_kind:     by_value
      - .actual_access:  read_only
        .address_space:  global
        .offset:         80
        .size:           8
        .value_kind:     global_buffer
      - .actual_access:  read_only
        .address_space:  global
        .offset:         88
        .size:           8
        .value_kind:     global_buffer
      - .actual_access:  read_only
        .address_space:  global
        .offset:         96
        .size:           8
        .value_kind:     global_buffer
      - .actual_access:  write_only
        .address_space:  global
        .offset:         104
        .size:           8
        .value_kind:     global_buffer
    .group_segment_fixed_size: 0
    .kernarg_segment_align: 8
    .kernarg_segment_size: 112
    .language:       OpenCL C
    .language_version:
      - 2
      - 0
    .max_flat_workgroup_size: 252
    .name:           fft_rtc_back_len168_factors_7_6_4_wgs_252_tpt_42_halfLds_half_op_CI_CI_sbcc_twdbase8_2step
    .private_segment_fixed_size: 0
    .sgpr_count:     61
    .sgpr_spill_count: 0
    .symbol:         fft_rtc_back_len168_factors_7_6_4_wgs_252_tpt_42_halfLds_half_op_CI_CI_sbcc_twdbase8_2step.kd
    .uniform_work_group_size: 1
    .uses_dynamic_stack: false
    .vgpr_count:     41
    .vgpr_spill_count: 0
    .wavefront_size: 32
    .workgroup_processor_mode: 1
amdhsa.target:   amdgcn-amd-amdhsa--gfx1030
amdhsa.version:
  - 1
  - 2
...

	.end_amdgpu_metadata
